;; amdgpu-corpus repo=ROCm/rocFFT kind=compiled arch=gfx906 opt=O3
	.text
	.amdgcn_target "amdgcn-amd-amdhsa--gfx906"
	.amdhsa_code_object_version 6
	.protected	fft_rtc_fwd_len243_factors_3_3_3_3_3_wgs_216_tpt_27_sp_op_CI_CI_sbrc_xy_z_aligned ; -- Begin function fft_rtc_fwd_len243_factors_3_3_3_3_3_wgs_216_tpt_27_sp_op_CI_CI_sbrc_xy_z_aligned
	.globl	fft_rtc_fwd_len243_factors_3_3_3_3_3_wgs_216_tpt_27_sp_op_CI_CI_sbrc_xy_z_aligned
	.p2align	8
	.type	fft_rtc_fwd_len243_factors_3_3_3_3_3_wgs_216_tpt_27_sp_op_CI_CI_sbrc_xy_z_aligned,@function
fft_rtc_fwd_len243_factors_3_3_3_3_3_wgs_216_tpt_27_sp_op_CI_CI_sbrc_xy_z_aligned: ; @fft_rtc_fwd_len243_factors_3_3_3_3_3_wgs_216_tpt_27_sp_op_CI_CI_sbrc_xy_z_aligned
; %bb.0:
	s_load_dwordx4 s[16:19], s[4:5], 0x10
	s_mov_b32 s7, 0
	s_mov_b32 s29, s7
	s_mov_b64 s[30:31], 0
	s_waitcnt lgkmcnt(0)
	s_load_dwordx4 s[20:23], s[16:17], 0x8
	s_load_dwordx2 s[24:25], s[4:5], 0x0
	s_waitcnt lgkmcnt(0)
	s_add_i32 s0, s22, -1
	s_lshr_b32 s0, s0, 3
	s_add_i32 s0, s0, 1
	s_mul_i32 s28, s0, s20
	v_cvt_f32_u32_e32 v1, s28
	s_load_dwordx4 s[0:3], s[4:5], 0x58
	s_load_dwordx2 s[26:27], s[4:5], 0x20
	s_load_dwordx4 s[12:15], s[18:19], 0x0
	s_load_dwordx2 s[22:23], s[18:19], 0x10
	s_waitcnt lgkmcnt(0)
	s_load_dwordx4 s[8:11], s[26:27], 0x0
	s_load_dwordx2 s[16:17], s[26:27], 0x10
	v_rcp_iflag_f32_e32 v1, v1
	s_waitcnt lgkmcnt(0)
	s_sub_i32 s11, 0, s28
	v_mul_f32_e32 v1, 0x4f7ffffe, v1
	v_cvt_u32_f32_e32 v3, v1
	v_mov_b32_e32 v1, s20
	v_mov_b32_e32 v2, s21
	v_readfirstlane_b32 s15, v3
	s_mul_i32 s11, s11, s15
	s_mul_hi_u32 s11, s15, s11
	s_add_i32 s15, s15, s11
	s_mul_hi_u32 s11, s6, s15
	s_mul_i32 s15, s11, s28
	s_sub_i32 s15, s6, s15
	s_add_i32 s17, s11, 1
	s_sub_i32 s23, s15, s28
	s_cmp_ge_u32 s15, s28
	s_cselect_b32 s11, s17, s11
	s_cselect_b32 s15, s23, s15
	s_add_i32 s17, s11, 1
	s_cmp_ge_u32 s15, s28
	s_cselect_b32 s11, s17, s11
	s_mul_i32 s15, s11, s28
	s_sub_i32 s28, s6, s15
	v_cmp_lt_u64_e32 vcc, s[28:29], v[1:2]
	v_cvt_f32_u32_e32 v1, s20
	s_cbranch_vccnz .LBB0_2
; %bb.1:
	v_rcp_iflag_f32_e32 v2, v1
	s_sub_i32 s15, 0, s20
	v_mul_f32_e32 v2, 0x4f7ffffe, v2
	v_cvt_u32_f32_e32 v2, v2
	v_readfirstlane_b32 s17, v2
	s_mul_i32 s15, s15, s17
	s_mul_hi_u32 s15, s17, s15
	s_add_i32 s17, s17, s15
	s_mul_hi_u32 s15, s28, s17
	s_mul_i32 s23, s15, s20
	s_sub_i32 s23, s28, s23
	s_add_i32 s17, s15, 1
	s_sub_i32 s28, s23, s20
	s_cmp_ge_u32 s23, s20
	s_cselect_b32 s15, s17, s15
	s_cselect_b32 s23, s28, s23
	s_add_i32 s17, s15, 1
	s_cmp_ge_u32 s23, s20
	s_cselect_b32 s30, s17, s15
.LBB0_2:
	v_mov_b32_e32 v2, s20
	v_mov_b32_e32 v3, s21
	v_cmp_lt_u64_e32 vcc, s[6:7], v[2:3]
	s_cbranch_vccnz .LBB0_4
; %bb.3:
	v_rcp_iflag_f32_e32 v1, v1
	s_sub_i32 s7, 0, s20
	v_mul_f32_e32 v1, 0x4f7ffffe, v1
	v_cvt_u32_f32_e32 v1, v1
	v_readfirstlane_b32 s15, v1
	s_mul_i32 s7, s7, s15
	s_mul_hi_u32 s7, s15, s7
	s_add_i32 s15, s15, s7
	s_mul_hi_u32 s7, s6, s15
	s_mul_i32 s7, s7, s20
	s_sub_i32 s6, s6, s7
	s_sub_i32 s7, s6, s20
	s_cmp_ge_u32 s6, s20
	s_cselect_b32 s6, s7, s6
	s_sub_i32 s7, s6, s20
	s_cmp_ge_u32 s6, s20
	s_cselect_b32 s6, s7, s6
.LBB0_4:
	s_load_dwordx2 s[20:21], s[4:5], 0x8
	s_lshl_b32 s4, s30, 3
	s_mul_i32 s5, s6, s14
	s_mul_i32 s7, s4, s22
	s_add_i32 s14, s5, s7
	s_mul_i32 s5, s9, s4
	s_mul_hi_u32 s7, s8, s4
	s_add_i32 s5, s7, s5
	s_waitcnt lgkmcnt(0)
	s_lshl_b64 s[20:21], s[20:21], 3
	s_add_u32 s18, s18, s20
	s_addc_u32 s19, s19, s21
	s_load_dwordx2 s[28:29], s[18:19], 0x0
	v_mul_u32_u24_e32 v1, 0x10e, v0
	v_lshrrev_b32_e32 v12, 16, v1
	v_mul_lo_u32 v1, s22, v12
	v_mov_b32_e32 v2, 0
	s_waitcnt lgkmcnt(0)
	s_mul_i32 s7, s29, s11
	s_mul_hi_u32 s15, s28, s11
	s_add_i32 s29, s15, s7
	s_add_u32 s18, s26, s20
	s_addc_u32 s19, s27, s21
	s_load_dwordx2 s[18:19], s[18:19], 0x0
	v_lshlrev_b64 v[3:4], 3, v[1:2]
	v_add_u32_e32 v1, 0x1b0, v0
	v_mul_u32_u24_e32 v5, 0x437, v1
	s_mul_i32 s28, s28, s11
	s_waitcnt lgkmcnt(0)
	s_mul_i32 s7, s19, s11
	s_mul_hi_u32 s17, s18, s11
	v_lshrrev_b32_e32 v9, 18, v5
	s_add_i32 s7, s17, s7
	s_lshl_b64 s[20:21], s[28:29], 3
	v_add_u32_e32 v14, 0xd8, v0
	v_mul_lo_u16_e32 v5, 0xf3, v9
	s_add_u32 s17, s0, s20
	v_sub_u16_e32 v7, v1, v5
	v_mul_u32_u24_e32 v1, 0x10e, v14
	s_addc_u32 s19, s1, s21
	v_mad_u64_u32 v[5:6], s[20:21], s12, v7, 0
	v_lshrrev_b32_e32 v15, 16, v1
	v_mul_lo_u32 v1, s22, v15
	v_mad_u64_u32 v[6:7], s[20:21], s13, v7, v[6:7]
	s_mov_b32 s15, 0
	v_lshlrev_b64 v[7:8], 3, v[1:2]
	v_mul_lo_u32 v1, s22, v9
	v_add_u32_e32 v9, 0x288, v0
	v_mul_u32_u24_e32 v10, 0x437, v9
	v_lshrrev_b32_e32 v13, 18, v10
	v_mul_lo_u16_e32 v10, 0xf3, v13
	v_sub_u16_e32 v16, v9, v10
	s_lshl_b64 s[0:1], s[14:15], 3
	v_mad_u64_u32 v[9:10], s[20:21], s12, v16, 0
	s_add_u32 s0, s17, s0
	v_lshlrev_b64 v[5:6], 3, v[5:6]
	s_addc_u32 s1, s19, s1
	v_mov_b32_e32 v11, s1
	v_add_co_u32_e32 v17, vcc, s0, v5
	v_addc_co_u32_e32 v18, vcc, v11, v6, vcc
	v_lshlrev_b64 v[5:6], 3, v[1:2]
	v_mov_b32_e32 v1, v10
	v_mad_u64_u32 v[10:11], s[20:21], s13, v16, v[1:2]
	v_mul_lo_u16_e32 v11, 0xf3, v12
	v_sub_u16_e32 v16, v0, v11
	v_mul_lo_u32 v1, s22, v13
	v_mad_u64_u32 v[11:12], s[20:21], s12, v16, 0
	v_add_co_u32_e32 v5, vcc, v17, v5
	v_lshlrev_b64 v[9:10], 3, v[9:10]
	v_addc_co_u32_e32 v6, vcc, v18, v6, vcc
	v_mov_b32_e32 v13, s1
	v_add_co_u32_e32 v17, vcc, s0, v9
	v_addc_co_u32_e32 v18, vcc, v13, v10, vcc
	v_lshlrev_b64 v[9:10], 3, v[1:2]
	v_mov_b32_e32 v1, v12
	v_mad_u64_u32 v[12:13], s[20:21], s13, v16, v[1:2]
	v_mul_lo_u16_e32 v13, 0xf3, v15
	v_sub_u16_e32 v15, v14, v13
	v_mad_u64_u32 v[13:14], s[20:21], s12, v15, 0
	v_add_co_u32_e32 v9, vcc, v17, v9
	v_lshlrev_b64 v[11:12], 3, v[11:12]
	v_addc_co_u32_e32 v10, vcc, v18, v10, vcc
	v_mov_b32_e32 v1, s1
	v_add_co_u32_e32 v16, vcc, s0, v11
	v_addc_co_u32_e32 v17, vcc, v1, v12, vcc
	v_mov_b32_e32 v1, v14
	v_mad_u64_u32 v[11:12], s[20:21], s13, v15, v[1:2]
	v_add_co_u32_e32 v3, vcc, v16, v3
	v_mov_b32_e32 v14, v11
	v_lshlrev_b64 v[11:12], 3, v[13:14]
	v_add_u32_e32 v13, 0x360, v0
	v_mul_u32_u24_e32 v14, 0x437, v13
	v_lshrrev_b32_e32 v15, 18, v14
	v_mul_lo_u16_e32 v14, 0xf3, v15
	v_sub_u16_e32 v16, v13, v14
	v_mad_u64_u32 v[13:14], s[20:21], s12, v16, 0
	v_addc_co_u32_e32 v4, vcc, v17, v4, vcc
	v_mov_b32_e32 v1, s1
	v_add_co_u32_e32 v17, vcc, s0, v11
	v_addc_co_u32_e32 v18, vcc, v1, v12, vcc
	v_mov_b32_e32 v1, v14
	v_mad_u64_u32 v[11:12], s[20:21], s13, v16, v[1:2]
	v_add_co_u32_e32 v7, vcc, v17, v7
	v_mov_b32_e32 v14, v11
	v_lshlrev_b64 v[11:12], 3, v[13:14]
	v_add_u32_e32 v13, 0x438, v0
	v_mul_u32_u24_e32 v14, 0x437, v13
	v_lshrrev_b32_e32 v16, 18, v14
	v_mul_lo_u16_e32 v14, 0xf3, v16
	v_sub_u16_e32 v17, v13, v14
	v_mul_lo_u32 v1, s22, v15
	v_mad_u64_u32 v[13:14], s[20:21], s12, v17, 0
	v_addc_co_u32_e32 v8, vcc, v18, v8, vcc
	v_mov_b32_e32 v15, s1
	v_add_co_u32_e32 v18, vcc, s0, v11
	v_addc_co_u32_e32 v19, vcc, v15, v12, vcc
	v_lshlrev_b64 v[11:12], 3, v[1:2]
	v_mov_b32_e32 v1, v14
	v_mad_u64_u32 v[14:15], s[20:21], s13, v17, v[1:2]
	v_add_u32_e32 v15, 0x510, v0
	v_mul_lo_u32 v1, s22, v16
	v_mul_u32_u24_e32 v16, 0x437, v15
	v_add_co_u32_e32 v11, vcc, v18, v11
	v_lshrrev_b32_e32 v18, 18, v16
	v_mul_lo_u16_e32 v16, 0xf3, v18
	v_addc_co_u32_e32 v12, vcc, v19, v12, vcc
	v_sub_u16_e32 v19, v15, v16
	v_mad_u64_u32 v[15:16], s[20:21], s12, v19, 0
	v_lshlrev_b64 v[13:14], 3, v[13:14]
	v_mov_b32_e32 v17, s1
	v_add_co_u32_e32 v20, vcc, s0, v13
	v_addc_co_u32_e32 v21, vcc, v17, v14, vcc
	v_lshlrev_b64 v[13:14], 3, v[1:2]
	v_mov_b32_e32 v1, v16
	v_mad_u64_u32 v[16:17], s[20:21], s13, v19, v[1:2]
	v_add_u32_e32 v17, 0x5e8, v0
	v_mul_lo_u32 v1, s22, v18
	v_mul_u32_u24_e32 v18, 0x437, v17
	v_add_co_u32_e32 v13, vcc, v20, v13
	v_lshrrev_b32_e32 v20, 18, v18
	v_mul_lo_u16_e32 v18, 0xf3, v20
	v_addc_co_u32_e32 v14, vcc, v21, v14, vcc
	v_sub_u16_e32 v21, v17, v18
	v_mad_u64_u32 v[17:18], s[20:21], s12, v21, 0
	v_lshlrev_b64 v[15:16], 3, v[15:16]
	v_mov_b32_e32 v19, s1
	v_add_co_u32_e32 v22, vcc, s0, v15
	v_addc_co_u32_e32 v23, vcc, v19, v16, vcc
	v_lshlrev_b64 v[15:16], 3, v[1:2]
	v_mov_b32_e32 v1, v18
	v_mad_u64_u32 v[18:19], s[20:21], s13, v21, v[1:2]
	v_add_u32_e32 v19, 0x6c0, v0
	v_mul_lo_u32 v1, s22, v20
	v_mul_u32_u24_e32 v20, 0x437, v19
	v_lshrrev_b32_e32 v25, 18, v20
	v_mul_lo_u16_e32 v20, 0xf3, v25
	v_add_co_u32_e32 v15, vcc, v22, v15
	v_sub_u16_e32 v22, v19, v20
	v_mad_u64_u32 v[19:20], s[20:21], s12, v22, 0
	v_lshlrev_b64 v[17:18], 3, v[17:18]
	v_addc_co_u32_e32 v16, vcc, v23, v16, vcc
	v_mov_b32_e32 v21, s1
	v_add_co_u32_e32 v23, vcc, s0, v17
	v_addc_co_u32_e32 v24, vcc, v21, v18, vcc
	v_lshlrev_b64 v[17:18], 3, v[1:2]
	v_mov_b32_e32 v1, v20
	v_mad_u64_u32 v[20:21], s[12:13], s13, v22, v[1:2]
	v_add_co_u32_e32 v17, vcc, v23, v17
	v_mul_lo_u32 v1, s22, v25
	v_addc_co_u32_e32 v18, vcc, v24, v18, vcc
	global_load_dwordx2 v[21:22], v[5:6], off
	global_load_dwordx2 v[23:24], v[9:10], off
	v_lshlrev_b64 v[5:6], 3, v[19:20]
	v_mov_b32_e32 v9, s1
	v_add_co_u32_e32 v10, vcc, s0, v5
	v_addc_co_u32_e32 v9, vcc, v9, v6, vcc
	v_lshlrev_b64 v[5:6], 3, v[1:2]
	v_lshl_add_u32 v1, v0, 3, 0
	v_add_co_u32_e32 v5, vcc, v10, v5
	v_addc_co_u32_e32 v6, vcc, v9, v6, vcc
	global_load_dwordx2 v[9:10], v[3:4], off
	global_load_dwordx2 v[19:20], v[7:8], off
	global_load_dwordx2 v[25:26], v[11:12], off
	global_load_dwordx2 v[27:28], v[13:14], off
	global_load_dwordx2 v[29:30], v[15:16], off
	global_load_dwordx2 v[31:32], v[17:18], off
	global_load_dwordx2 v[33:34], v[5:6], off
	v_add_u32_e32 v3, 0xd00, v1
	v_add_u32_e32 v5, 0x1a00, v1
	v_mov_b32_e32 v4, 7
	s_movk_i32 s0, 0xab
	s_mul_i32 s4, s8, s4
	s_mul_i32 s14, s6, s16
	;; [unrolled: 1-line block ×3, first 2 shown]
	s_waitcnt vmcnt(7)
	ds_write2_b64 v3, v[21:22], v[23:24] offset0:16 offset1:232
	v_mul_u32_u24_e32 v3, 0x97c, v0
	v_and_b32_sdwa v4, v3, v4 dst_sel:DWORD dst_unused:UNUSED_PAD src0_sel:WORD_1 src1_sel:DWORD
	v_mul_lo_u16_e32 v4, 0xf3, v4
	v_lshlrev_b32_e32 v8, 3, v4
	v_add_u32_e32 v4, 0, v8
	s_waitcnt vmcnt(5)
	ds_write2_b64 v1, v[9:10], v[19:20] offset1:216
	s_waitcnt vmcnt(3)
	ds_write2_b64 v5, v[25:26], v[27:28] offset0:32 offset1:248
	v_add_u32_e32 v5, 0x2800, v1
	s_waitcnt vmcnt(1)
	ds_write2_b64 v5, v[29:30], v[31:32] offset0:16 offset1:232
	s_waitcnt vmcnt(0)
	ds_write_b64 v1, v[33:34] offset:13824
	v_mov_b32_e32 v1, 27
	v_mul_lo_u16_sdwa v1, v3, v1 dst_sel:DWORD dst_unused:UNUSED_PAD src0_sel:WORD_1 src1_sel:DWORD
	v_sub_u16_e32 v25, v0, v1
	v_lshlrev_b32_e32 v1, 3, v25
	v_add_u32_e32 v3, v4, v1
	v_add3_u32 v1, 0, v1, v8
	s_waitcnt lgkmcnt(0)
	s_barrier
	ds_read_b64 v[6:7], v3
	ds_read2_b64 v[9:12], v1 offset0:81 offset1:108
	ds_read2_b64 v[13:16], v1 offset0:135 offset1:162
	;; [unrolled: 1-line block ×4, first 2 shown]
	s_waitcnt lgkmcnt(0)
	s_barrier
	v_add_f32_e32 v5, v6, v9
	v_add_f32_e32 v26, v9, v15
	;; [unrolled: 1-line block ×4, first 2 shown]
	v_sub_f32_e32 v30, v9, v15
	v_add_f32_e32 v9, v5, v15
	v_add_f32_e32 v5, v19, v13
	;; [unrolled: 1-line block ×3, first 2 shown]
	v_fma_f32 v6, -0.5, v26, v6
	v_fmac_f32_e32 v7, -0.5, v29
	v_sub_f32_e32 v27, v10, v16
	v_add_f32_e32 v31, v17, v11
	v_add_f32_e32 v10, v28, v16
	;; [unrolled: 1-line block ×3, first 2 shown]
	v_sub_f32_e32 v37, v14, v24
	v_add_f32_e32 v38, v14, v24
	v_sub_f32_e32 v39, v13, v23
	v_add_f32_e32 v13, v5, v23
	v_add_f32_e32 v14, v15, v24
	v_mov_b32_e32 v15, v6
	v_mov_b32_e32 v16, v7
	v_lshlrev_b32_e32 v5, 4, v25
	v_add_f32_e32 v32, v11, v21
	v_add_f32_e32 v35, v12, v22
	v_sub_f32_e32 v36, v11, v21
	v_add_f32_e32 v11, v31, v21
	v_fmac_f32_e32 v15, 0x3f5db3d7, v27
	v_fmac_f32_e32 v16, 0xbf5db3d7, v30
	v_add_u32_e32 v21, v1, v5
	v_sub_f32_e32 v33, v12, v22
	ds_write2_b64 v21, v[9:10], v[15:16] offset1:1
	v_fma_f32 v9, -0.5, v32, v17
	v_fma_f32 v10, -0.5, v35, v18
	v_mov_b32_e32 v15, v9
	v_mov_b32_e32 v16, v10
	v_fmac_f32_e32 v6, 0xbf5db3d7, v27
	v_fmac_f32_e32 v7, 0x3f5db3d7, v30
	;; [unrolled: 1-line block ×4, first 2 shown]
	ds_write2_b64 v21, v[6:7], v[9:10] offset0:2 offset1:83
	v_fma_f32 v6, -0.5, v28, v19
	v_fmac_f32_e32 v20, -0.5, v38
	v_add_f32_e32 v34, v18, v12
	v_mov_b32_e32 v7, v6
	v_mov_b32_e32 v9, v20
	v_add_f32_e32 v12, v34, v22
	v_fmac_f32_e32 v15, 0x3f5db3d7, v33
	v_fmac_f32_e32 v16, 0xbf5db3d7, v36
	;; [unrolled: 1-line block ×5, first 2 shown]
	v_add_u32_e32 v10, 0x400, v21
	ds_write2_b64 v21, v[11:12], v[15:16] offset0:81 offset1:82
	v_fmac_f32_e32 v20, 0x3f5db3d7, v39
	ds_write_b64 v21, v[13:14] offset:1296
	ds_write2_b32 v10, v7, v9 offset0:70 offset1:71
	ds_write2_b32 v10, v6, v20 offset0:72 offset1:73
	v_mul_lo_u16_sdwa v6, v25, s0 dst_sel:DWORD dst_unused:UNUSED_PAD src0_sel:BYTE_0 src1_sel:DWORD
	v_lshrrev_b16_e32 v26, 9, v6
	v_mul_lo_u16_e32 v6, 3, v26
	v_sub_u16_e32 v27, v25, v6
	v_mov_b32_e32 v28, 4
	v_lshlrev_b32_sdwa v6, v28, v27 dst_sel:DWORD dst_unused:UNUSED_PAD src0_sel:DWORD src1_sel:BYTE_0
	s_waitcnt lgkmcnt(0)
	s_barrier
	global_load_dwordx4 v[9:12], v6, s[24:25]
	v_add_u32_e32 v6, 27, v25
	v_mul_lo_u16_sdwa v7, v6, s0 dst_sel:DWORD dst_unused:UNUSED_PAD src0_sel:BYTE_0 src1_sel:DWORD
	v_lshrrev_b16_e32 v29, 9, v7
	v_mul_lo_u16_e32 v7, 3, v29
	v_sub_u16_e32 v30, v6, v7
	v_lshlrev_b32_sdwa v7, v28, v30 dst_sel:DWORD dst_unused:UNUSED_PAD src0_sel:DWORD src1_sel:BYTE_0
	global_load_dwordx4 v[13:16], v7, s[24:25]
	ds_read2_b64 v[17:20], v1 offset0:81 offset1:108
	ds_read2_b64 v[21:24], v1 offset0:135 offset1:162
	s_waitcnt vmcnt(1) lgkmcnt(1)
	v_mul_f32_e32 v7, v10, v18
	v_fma_f32 v31, v9, v17, -v7
	v_mul_f32_e32 v17, v10, v17
	s_waitcnt lgkmcnt(0)
	v_mul_f32_e32 v7, v12, v24
	v_fmac_f32_e32 v17, v9, v18
	v_fma_f32 v18, v11, v23, -v7
	v_mul_f32_e32 v23, v12, v23
	v_fmac_f32_e32 v23, v11, v24
	ds_read2_b64 v[9:12], v1 offset0:189 offset1:216
	s_waitcnt vmcnt(0)
	v_mul_f32_e32 v7, v14, v20
	v_fma_f32 v24, v13, v19, -v7
	v_mul_f32_e32 v19, v14, v19
	v_fmac_f32_e32 v19, v13, v20
	s_waitcnt lgkmcnt(0)
	v_mul_f32_e32 v7, v16, v10
	v_fma_f32 v20, v15, v9, -v7
	v_add_u32_e32 v7, 54, v25
	v_mul_f32_e32 v32, v16, v9
	v_mul_lo_u16_sdwa v9, v7, s0 dst_sel:DWORD dst_unused:UNUSED_PAD src0_sel:BYTE_0 src1_sel:DWORD
	v_lshrrev_b16_e32 v33, 9, v9
	v_mul_lo_u16_e32 v9, 3, v33
	v_sub_u16_e32 v34, v7, v9
	v_lshlrev_b32_sdwa v9, v28, v34 dst_sel:DWORD dst_unused:UNUSED_PAD src0_sel:DWORD src1_sel:BYTE_0
	v_fmac_f32_e32 v32, v15, v10
	global_load_dwordx4 v[13:16], v9, s[24:25]
	s_movk_i32 s0, 0x48
	v_add_f32_e32 v10, v31, v18
	v_sub_f32_e32 v37, v17, v23
	s_waitcnt vmcnt(0)
	v_mul_f32_e32 v9, v14, v22
	v_fma_f32 v35, v13, v21, -v9
	v_mul_f32_e32 v21, v14, v21
	v_fmac_f32_e32 v21, v13, v22
	ds_read_b64 v[13:14], v3
	v_mul_f32_e32 v9, v12, v16
	v_fma_f32 v22, v11, v15, -v9
	v_mul_f32_e32 v36, v11, v16
	v_fmac_f32_e32 v36, v12, v15
	s_waitcnt lgkmcnt(0)
	v_add_f32_e32 v9, v13, v31
	v_add_f32_e32 v15, v9, v18
	;; [unrolled: 1-line block ×5, first 2 shown]
	v_fmac_f32_e32 v14, -0.5, v9
	v_mad_u32_u24 v9, v26, s0, 0
	v_mov_b32_e32 v26, 3
	v_fma_f32 v13, -0.5, v10, v13
	v_lshlrev_b32_sdwa v10, v26, v27 dst_sel:DWORD dst_unused:UNUSED_PAD src0_sel:DWORD src1_sel:BYTE_0
	v_add3_u32 v27, v9, v10, v8
	ds_read2_b64 v[9:12], v1 offset0:27 offset1:54
	v_sub_f32_e32 v23, v31, v18
	v_mov_b32_e32 v17, v13
	v_mov_b32_e32 v18, v14
	v_fmac_f32_e32 v17, 0x3f5db3d7, v37
	v_fmac_f32_e32 v18, 0xbf5db3d7, v23
	s_waitcnt lgkmcnt(0)
	s_barrier
	ds_write2_b64 v27, v[15:16], v[17:18] offset1:3
	v_fmac_f32_e32 v13, 0xbf5db3d7, v37
	v_fmac_f32_e32 v14, 0x3f5db3d7, v23
	v_add_f32_e32 v15, v19, v32
	v_add_f32_e32 v16, v24, v20
	ds_write_b64 v27, v[13:14] offset:48
	v_add_f32_e32 v13, v9, v24
	v_add_f32_e32 v14, v10, v19
	v_fma_f32 v9, -0.5, v16, v9
	v_fma_f32 v10, -0.5, v15, v10
	v_mad_u32_u24 v15, v29, s0, 0
	v_lshlrev_b32_sdwa v16, v26, v30 dst_sel:DWORD dst_unused:UNUSED_PAD src0_sel:DWORD src1_sel:BYTE_0
	v_sub_f32_e32 v17, v19, v32
	v_sub_f32_e32 v18, v24, v20
	v_add3_u32 v19, v15, v16, v8
	v_mov_b32_e32 v15, v9
	v_mov_b32_e32 v16, v10
	v_add_f32_e32 v13, v13, v20
	v_add_f32_e32 v14, v14, v32
	v_fmac_f32_e32 v15, 0x3f5db3d7, v17
	v_fmac_f32_e32 v16, 0xbf5db3d7, v18
	;; [unrolled: 1-line block ×4, first 2 shown]
	ds_write2_b64 v19, v[13:14], v[15:16] offset1:3
	ds_write_b64 v19, v[9:10] offset:48
	v_add_f32_e32 v10, v35, v22
	v_add_f32_e32 v13, v21, v36
	;; [unrolled: 1-line block ×3, first 2 shown]
	v_fma_f32 v11, -0.5, v10, v11
	v_add_f32_e32 v10, v12, v21
	v_fmac_f32_e32 v12, -0.5, v13
	v_mad_u32_u24 v13, v33, s0, 0
	v_lshlrev_b32_sdwa v14, v26, v34 dst_sel:DWORD dst_unused:UNUSED_PAD src0_sel:DWORD src1_sel:BYTE_0
	v_sub_f32_e32 v15, v21, v36
	v_sub_f32_e32 v16, v35, v22
	v_add3_u32 v17, v13, v14, v8
	v_mov_b32_e32 v13, v11
	v_mov_b32_e32 v14, v12
	v_add_f32_e32 v9, v9, v22
	v_add_f32_e32 v10, v10, v36
	v_fmac_f32_e32 v13, 0x3f5db3d7, v15
	v_fmac_f32_e32 v14, 0xbf5db3d7, v16
	v_mov_b32_e32 v27, 57
	ds_write2_b64 v17, v[9:10], v[13:14] offset1:3
	v_mul_lo_u16_sdwa v9, v25, v27 dst_sel:DWORD dst_unused:UNUSED_PAD src0_sel:BYTE_0 src1_sel:DWORD
	v_lshrrev_b16_e32 v29, 9, v9
	v_mul_lo_u16_e32 v9, 9, v29
	v_sub_u16_e32 v25, v25, v9
	v_mul_lo_u16_sdwa v13, v6, v27 dst_sel:DWORD dst_unused:UNUSED_PAD src0_sel:BYTE_0 src1_sel:DWORD
	v_fmac_f32_e32 v11, 0xbf5db3d7, v15
	v_fmac_f32_e32 v12, 0x3f5db3d7, v16
	v_lshlrev_b32_sdwa v9, v28, v25 dst_sel:DWORD dst_unused:UNUSED_PAD src0_sel:DWORD src1_sel:BYTE_0
	v_lshrrev_b16_e32 v30, 9, v13
	ds_write_b64 v17, v[11:12] offset:48
	s_waitcnt lgkmcnt(0)
	s_barrier
	global_load_dwordx4 v[9:12], v9, s[24:25] offset:48
	v_mul_lo_u16_e32 v13, 9, v30
	v_sub_u16_e32 v31, v6, v13
	v_lshlrev_b32_sdwa v13, v28, v31 dst_sel:DWORD dst_unused:UNUSED_PAD src0_sel:DWORD src1_sel:BYTE_0
	global_load_dwordx4 v[13:16], v13, s[24:25] offset:48
	ds_read2_b64 v[17:20], v1 offset0:81 offset1:108
	ds_read2_b64 v[21:24], v1 offset0:135 offset1:162
	s_movk_i32 s0, 0xd8
	s_waitcnt vmcnt(1) lgkmcnt(1)
	v_mul_f32_e32 v32, v10, v18
	v_fma_f32 v32, v9, v17, -v32
	v_mul_f32_e32 v17, v10, v17
	v_fmac_f32_e32 v17, v9, v18
	s_waitcnt lgkmcnt(0)
	v_mul_f32_e32 v9, v12, v24
	v_fma_f32 v18, v11, v23, -v9
	v_mul_f32_e32 v23, v12, v23
	s_waitcnt vmcnt(0)
	v_mul_f32_e32 v9, v14, v20
	v_fmac_f32_e32 v23, v11, v24
	v_fma_f32 v24, v13, v19, -v9
	ds_read2_b64 v[9:12], v1 offset0:189 offset1:216
	v_mul_f32_e32 v19, v14, v19
	v_fmac_f32_e32 v19, v13, v20
	v_sub_f32_e32 v36, v17, v23
	s_waitcnt lgkmcnt(0)
	v_mul_f32_e32 v13, v16, v10
	v_fma_f32 v20, v15, v9, -v13
	v_mul_f32_e32 v33, v16, v9
	v_mul_lo_u16_sdwa v9, v7, v27 dst_sel:DWORD dst_unused:UNUSED_PAD src0_sel:BYTE_0 src1_sel:DWORD
	v_lshrrev_b16_e32 v27, 9, v9
	v_mul_lo_u16_e32 v9, 9, v27
	v_sub_u16_e32 v34, v7, v9
	v_lshlrev_b32_sdwa v9, v28, v34 dst_sel:DWORD dst_unused:UNUSED_PAD src0_sel:DWORD src1_sel:BYTE_0
	v_fmac_f32_e32 v33, v15, v10
	global_load_dwordx4 v[13:16], v9, s[24:25] offset:48
	v_add_f32_e32 v10, v32, v18
	s_waitcnt vmcnt(0)
	v_mul_f32_e32 v9, v14, v22
	v_fma_f32 v28, v13, v21, -v9
	v_mul_f32_e32 v21, v14, v21
	v_fmac_f32_e32 v21, v13, v22
	ds_read_b64 v[13:14], v3
	v_mul_f32_e32 v9, v12, v16
	v_fma_f32 v22, v11, v15, -v9
	v_mul_f32_e32 v35, v11, v16
	v_fmac_f32_e32 v35, v12, v15
	s_waitcnt lgkmcnt(0)
	v_add_f32_e32 v9, v13, v32
	v_add_f32_e32 v15, v9, v18
	;; [unrolled: 1-line block ×5, first 2 shown]
	v_fma_f32 v13, -0.5, v10, v13
	v_fmac_f32_e32 v14, -0.5, v9
	v_mad_u32_u24 v9, v29, s0, 0
	v_lshlrev_b32_sdwa v10, v26, v25 dst_sel:DWORD dst_unused:UNUSED_PAD src0_sel:DWORD src1_sel:BYTE_0
	v_add3_u32 v25, v9, v10, v8
	ds_read2_b64 v[9:12], v1 offset0:27 offset1:54
	v_sub_f32_e32 v23, v32, v18
	v_mov_b32_e32 v17, v13
	v_mov_b32_e32 v18, v14
	v_fmac_f32_e32 v17, 0x3f5db3d7, v36
	v_fmac_f32_e32 v18, 0xbf5db3d7, v23
	s_waitcnt lgkmcnt(0)
	s_barrier
	ds_write2_b64 v25, v[15:16], v[17:18] offset1:9
	v_fmac_f32_e32 v13, 0xbf5db3d7, v36
	v_fmac_f32_e32 v14, 0x3f5db3d7, v23
	v_add_f32_e32 v15, v19, v33
	v_add_f32_e32 v16, v24, v20
	ds_write_b64 v25, v[13:14] offset:144
	v_add_f32_e32 v13, v9, v24
	v_add_f32_e32 v14, v10, v19
	v_sub_f32_e32 v17, v19, v33
	v_fma_f32 v9, -0.5, v16, v9
	v_fma_f32 v10, -0.5, v15, v10
	v_sub_f32_e32 v18, v24, v20
	v_mad_u32_u24 v15, v30, s0, 0
	v_lshlrev_b32_sdwa v16, v26, v31 dst_sel:DWORD dst_unused:UNUSED_PAD src0_sel:DWORD src1_sel:BYTE_0
	v_add3_u32 v19, v15, v16, v8
	v_mov_b32_e32 v15, v9
	v_mov_b32_e32 v16, v10
	v_fmac_f32_e32 v9, 0xbf5db3d7, v17
	v_fmac_f32_e32 v10, 0x3f5db3d7, v18
	ds_write_b64 v19, v[9:10] offset:144
	v_add_f32_e32 v9, v28, v22
	v_add_f32_e32 v13, v13, v20
	;; [unrolled: 1-line block ×3, first 2 shown]
	v_fmac_f32_e32 v15, 0x3f5db3d7, v17
	v_fmac_f32_e32 v16, 0xbf5db3d7, v18
	v_add_f32_e32 v10, v11, v28
	v_fma_f32 v11, -0.5, v9, v11
	ds_write2_b64 v19, v[13:14], v[15:16] offset1:9
	v_sub_f32_e32 v13, v21, v35
	v_mov_b32_e32 v9, v11
	v_fmac_f32_e32 v9, 0x3f5db3d7, v13
	v_fmac_f32_e32 v11, 0xbf5db3d7, v13
	v_add_f32_e32 v13, v10, v22
	v_add_f32_e32 v10, v12, v21
	;; [unrolled: 1-line block ×4, first 2 shown]
	v_fmac_f32_e32 v12, -0.5, v10
	v_sub_f32_e32 v15, v28, v22
	v_mov_b32_e32 v10, v12
	v_fmac_f32_e32 v10, 0xbf5db3d7, v15
	v_fmac_f32_e32 v12, 0x3f5db3d7, v15
	v_lshlrev_b32_sdwa v15, v26, v34 dst_sel:DWORD dst_unused:UNUSED_PAD src0_sel:DWORD src1_sel:BYTE_0
	v_mad_u32_u24 v16, v27, s0, 0
	v_add3_u32 v8, v16, v15, v8
	ds_write2_b64 v8, v[13:14], v[9:10] offset1:9
	ds_write_b64 v8, v[11:12] offset:144
	s_waitcnt lgkmcnt(0)
	s_barrier
	global_load_dwordx4 v[8:11], v5, s[24:25] offset:192
	v_mov_b32_e32 v12, 19
	v_mul_lo_u16_sdwa v12, v7, v12 dst_sel:DWORD dst_unused:UNUSED_PAD src0_sel:BYTE_0 src1_sel:DWORD
	v_lshrrev_b16_e32 v12, 9, v12
	v_mul_lo_u16_e32 v12, 27, v12
	v_sub_u16_e32 v12, v7, v12
	v_and_b32_e32 v24, 0xff, v12
	v_lshlrev_b32_e32 v12, 4, v24
	global_load_dwordx4 v[12:15], v12, s[24:25] offset:192
	ds_read2_b64 v[16:19], v1 offset0:81 offset1:108
	v_lshl_add_u32 v4, v24, 3, v4
	s_waitcnt vmcnt(1) lgkmcnt(0)
	v_mul_f32_e32 v20, v9, v17
	v_fma_f32 v25, v8, v16, -v20
	v_mul_f32_e32 v26, v9, v16
	ds_read2_b64 v[20:23], v1 offset0:135 offset1:162
	v_mul_f32_e32 v16, v9, v19
	v_mul_f32_e32 v28, v9, v18
	v_fmac_f32_e32 v26, v8, v17
	v_fma_f32 v27, v8, v18, -v16
	v_fmac_f32_e32 v28, v8, v19
	ds_read2_b64 v[16:19], v1 offset0:189 offset1:216
	s_waitcnt lgkmcnt(1)
	v_mul_f32_e32 v8, v11, v23
	v_mul_f32_e32 v9, v11, v22
	v_fma_f32 v8, v10, v22, -v8
	v_fmac_f32_e32 v9, v10, v23
	s_waitcnt lgkmcnt(0)
	v_mul_f32_e32 v22, v11, v17
	v_mul_f32_e32 v23, v11, v16
	v_fma_f32 v22, v10, v16, -v22
	v_fmac_f32_e32 v23, v10, v17
	s_waitcnt vmcnt(0)
	v_mul_f32_e32 v10, v13, v21
	v_fma_f32 v29, v12, v20, -v10
	v_mul_f32_e32 v20, v13, v20
	v_fmac_f32_e32 v20, v12, v21
	ds_read_b64 v[12:13], v3
	v_mul_f32_e32 v10, v19, v15
	v_fma_f32 v21, v18, v14, -v10
	v_mul_f32_e32 v18, v18, v15
	v_fmac_f32_e32 v18, v19, v14
	s_waitcnt lgkmcnt(0)
	v_add_f32_e32 v10, v12, v25
	v_add_f32_e32 v14, v10, v8
	;; [unrolled: 1-line block ×5, first 2 shown]
	v_sub_f32_e32 v19, v26, v9
	v_add_f32_e32 v9, v26, v9
	v_fma_f32 v12, -0.5, v11, v12
	v_fmac_f32_e32 v13, -0.5, v9
	v_sub_f32_e32 v25, v25, v8
	ds_read2_b64 v[8:11], v1 offset0:27 offset1:54
	v_mov_b32_e32 v16, v12
	v_mov_b32_e32 v17, v13
	v_fmac_f32_e32 v16, 0x3f5db3d7, v19
	v_fmac_f32_e32 v17, 0xbf5db3d7, v25
	s_waitcnt lgkmcnt(0)
	s_barrier
	ds_write2_b64 v1, v[14:15], v[16:17] offset1:27
	v_add_f32_e32 v14, v8, v27
	v_add_f32_e32 v15, v9, v28
	v_fmac_f32_e32 v12, 0xbf5db3d7, v19
	v_fmac_f32_e32 v13, 0x3f5db3d7, v25
	v_add_f32_e32 v14, v14, v22
	v_add_f32_e32 v15, v15, v23
	ds_write2_b64 v1, v[12:13], v[14:15] offset0:54 offset1:81
	v_add_f32_e32 v12, v27, v22
	v_fma_f32 v8, -0.5, v12, v8
	v_sub_f32_e32 v13, v28, v23
	v_mov_b32_e32 v12, v8
	v_fmac_f32_e32 v12, 0x3f5db3d7, v13
	v_fmac_f32_e32 v8, 0xbf5db3d7, v13
	v_add_f32_e32 v13, v28, v23
	v_fma_f32 v9, -0.5, v13, v9
	v_sub_f32_e32 v14, v27, v22
	v_mov_b32_e32 v13, v9
	v_fmac_f32_e32 v13, 0xbf5db3d7, v14
	v_fmac_f32_e32 v9, 0x3f5db3d7, v14
	ds_write2_b64 v1, v[12:13], v[8:9] offset0:108 offset1:135
	v_add_f32_e32 v8, v29, v21
	v_add_f32_e32 v9, v10, v29
	v_fma_f32 v10, -0.5, v8, v10
	v_sub_f32_e32 v12, v20, v18
	v_mov_b32_e32 v8, v10
	v_fmac_f32_e32 v8, 0x3f5db3d7, v12
	v_fmac_f32_e32 v10, 0xbf5db3d7, v12
	v_add_f32_e32 v12, v9, v21
	v_add_f32_e32 v9, v11, v20
	;; [unrolled: 1-line block ×4, first 2 shown]
	v_fmac_f32_e32 v11, -0.5, v9
	v_sub_f32_e32 v14, v29, v21
	v_mov_b32_e32 v9, v11
	v_fmac_f32_e32 v9, 0xbf5db3d7, v14
	v_fmac_f32_e32 v11, 0x3f5db3d7, v14
	ds_write2_b64 v4, v[12:13], v[8:9] offset0:162 offset1:189
	ds_write_b64 v4, v[10:11] offset:1728
	s_waitcnt lgkmcnt(0)
	s_barrier
	global_load_dwordx4 v[8:11], v5, s[24:25] offset:624
	v_lshlrev_b32_e32 v4, 4, v6
	global_load_dwordx4 v[12:15], v4, s[24:25] offset:624
	v_lshlrev_b32_e32 v4, 4, v7
	global_load_dwordx4 v[4:7], v4, s[24:25] offset:624
	ds_read2_b64 v[16:19], v1 offset0:81 offset1:108
	ds_read2_b64 v[20:23], v1 offset0:135 offset1:162
	s_waitcnt vmcnt(2) lgkmcnt(1)
	v_mul_f32_e32 v24, v9, v17
	v_fma_f32 v24, v8, v16, -v24
	v_mul_f32_e32 v16, v9, v16
	v_fmac_f32_e32 v16, v8, v17
	s_waitcnt lgkmcnt(0)
	v_mul_f32_e32 v8, v11, v23
	v_fma_f32 v17, v10, v22, -v8
	v_mul_f32_e32 v22, v11, v22
	v_fmac_f32_e32 v22, v10, v23
	ds_read2_b64 v[8:11], v1 offset0:189 offset1:216
	s_waitcnt vmcnt(1)
	v_mul_f32_e32 v23, v13, v19
	v_fma_f32 v23, v12, v18, -v23
	v_mul_f32_e32 v18, v13, v18
	v_fmac_f32_e32 v18, v12, v19
	s_waitcnt lgkmcnt(0)
	v_mul_f32_e32 v12, v15, v9
	v_fma_f32 v19, v14, v8, -v12
	v_mul_f32_e32 v15, v15, v8
	s_waitcnt vmcnt(0)
	v_mul_f32_e32 v8, v5, v21
	v_fmac_f32_e32 v15, v14, v9
	v_fma_f32 v14, v4, v20, -v8
	v_mul_f32_e32 v20, v5, v20
	v_fmac_f32_e32 v20, v4, v21
	v_mul_f32_e32 v4, v11, v7
	v_mul_f32_e32 v7, v10, v7
	ds_read_b64 v[8:9], v3
	v_fma_f32 v21, v10, v6, -v4
	v_fmac_f32_e32 v7, v11, v6
	ds_read2_b64 v[3:6], v1 offset0:27 offset1:54
	s_waitcnt lgkmcnt(0)
	v_add_f32_e32 v10, v8, v24
	v_add_f32_e32 v11, v9, v16
	;; [unrolled: 1-line block ×8, first 2 shown]
	s_barrier
	ds_write2_b64 v1, v[10:11], v[12:13] offset1:27
	v_add_f32_e32 v10, v24, v17
	v_fma_f32 v8, -0.5, v10, v8
	v_sub_f32_e32 v11, v16, v22
	v_mov_b32_e32 v10, v8
	v_fmac_f32_e32 v10, 0x3f5db3d7, v11
	v_fmac_f32_e32 v8, 0xbf5db3d7, v11
	v_add_f32_e32 v11, v16, v22
	v_fmac_f32_e32 v9, -0.5, v11
	v_sub_f32_e32 v12, v24, v17
	v_mov_b32_e32 v11, v9
	v_fmac_f32_e32 v11, 0xbf5db3d7, v12
	v_fmac_f32_e32 v9, 0x3f5db3d7, v12
	v_add_f32_e32 v12, v23, v19
	v_fma_f32 v12, -0.5, v12, v3
	v_sub_f32_e32 v3, v18, v15
	v_mov_b32_e32 v13, v12
	v_fmac_f32_e32 v13, 0x3f5db3d7, v3
	v_fmac_f32_e32 v12, 0xbf5db3d7, v3
	v_add_f32_e32 v3, v18, v15
	v_fma_f32 v16, -0.5, v3, v4
	v_add_f32_e32 v3, v14, v21
	v_sub_f32_e32 v15, v23, v19
	v_mov_b32_e32 v17, v16
	ds_write_b64 v1, v[8:9] offset:1296
	v_fma_f32 v9, -0.5, v3, v5
	v_fmac_f32_e32 v17, 0xbf5db3d7, v15
	v_fmac_f32_e32 v16, 0x3f5db3d7, v15
	v_sub_f32_e32 v3, v20, v7
	v_mov_b32_e32 v15, v9
	v_fmac_f32_e32 v15, 0x3f5db3d7, v3
	v_fmac_f32_e32 v9, 0xbf5db3d7, v3
	v_add_f32_e32 v3, v5, v14
	v_add_f32_e32 v5, v20, v7
	;; [unrolled: 1-line block ×3, first 2 shown]
	v_fmac_f32_e32 v6, -0.5, v5
	v_sub_f32_e32 v5, v14, v21
	v_mov_b32_e32 v14, v6
	v_fmac_f32_e32 v14, 0xbf5db3d7, v5
	v_fmac_f32_e32 v6, 0x3f5db3d7, v5
	v_add_u32_e32 v5, 0x400, v1
	v_add_f32_e32 v3, v3, v21
	v_add_f32_e32 v4, v4, v7
	ds_write2_b32 v1, v13, v17 offset0:216 offset1:217
	ds_write2_b32 v5, v12, v16 offset0:122 offset1:123
	ds_write2_b64 v1, v[3:4], v[10:11] offset0:54 offset1:81
	v_and_b32_e32 v10, 7, v0
	v_mad_u64_u32 v[7:8], s[0:1], s8, v10, 0
	ds_write2_b32 v5, v15, v14 offset0:14 offset1:15
	ds_write2_b32 v5, v9, v6 offset0:176 offset1:177
	s_waitcnt lgkmcnt(0)
	v_mov_b32_e32 v1, v8
	v_mad_u64_u32 v[3:4], s[0:1], s9, v10, v[1:2]
	s_lshl_b64 s[0:1], s[4:5], 3
	s_add_u32 s2, s2, s0
	s_addc_u32 s3, s3, s1
	s_lshl_b64 s[0:1], s[14:15], 3
	v_lshrrev_b32_e32 v1, 3, v0
	s_add_u32 s2, s2, s0
	v_mov_b32_e32 v8, v3
	v_mul_lo_u32 v1, v1, s10
	s_addc_u32 s3, s3, s1
	s_lshl_b64 s[0:1], s[6:7], 3
	v_mul_u32_u24_e32 v3, 0x798, v10
	v_and_b32_e32 v0, 0xf8, v0
	s_add_u32 s0, s2, s0
	v_lshlrev_b64 v[7:8], 3, v[7:8]
	v_add3_u32 v0, 0, v3, v0
	s_addc_u32 s1, s3, s1
	s_barrier
	ds_read2_b64 v[3:6], v0 offset1:27
	v_mov_b32_e32 v9, s1
	v_add_co_u32_e32 v10, vcc, s0, v7
	v_addc_co_u32_e32 v9, vcc, v9, v8, vcc
	v_lshlrev_b64 v[7:8], 3, v[1:2]
	s_mul_i32 s0, s10, 27
	v_add_co_u32_e32 v7, vcc, v10, v7
	v_addc_co_u32_e32 v8, vcc, v9, v8, vcc
	v_add_u32_e32 v1, s0, v1
	s_waitcnt lgkmcnt(0)
	global_store_dwordx2 v[7:8], v[3:4], off
	v_lshlrev_b64 v[3:4], 3, v[1:2]
	v_add_u32_e32 v1, s0, v1
	v_add_co_u32_e32 v3, vcc, v10, v3
	v_addc_co_u32_e32 v4, vcc, v9, v4, vcc
	global_store_dwordx2 v[3:4], v[5:6], off
	ds_read2_b64 v[3:6], v0 offset0:54 offset1:81
	v_lshlrev_b64 v[7:8], 3, v[1:2]
	v_add_u32_e32 v1, s0, v1
	v_add_co_u32_e32 v7, vcc, v10, v7
	v_addc_co_u32_e32 v8, vcc, v9, v8, vcc
	s_waitcnt lgkmcnt(0)
	global_store_dwordx2 v[7:8], v[3:4], off
	v_lshlrev_b64 v[3:4], 3, v[1:2]
	v_add_u32_e32 v1, s0, v1
	v_add_co_u32_e32 v3, vcc, v10, v3
	v_addc_co_u32_e32 v4, vcc, v9, v4, vcc
	global_store_dwordx2 v[3:4], v[5:6], off
	ds_read2_b64 v[3:6], v0 offset0:108 offset1:135
	v_lshlrev_b64 v[7:8], 3, v[1:2]
	v_add_u32_e32 v1, s0, v1
	v_add_co_u32_e32 v7, vcc, v10, v7
	v_addc_co_u32_e32 v8, vcc, v9, v8, vcc
	;; [unrolled: 12-line block ×3, first 2 shown]
	s_waitcnt lgkmcnt(0)
	global_store_dwordx2 v[7:8], v[3:4], off
	v_lshlrev_b64 v[3:4], 3, v[1:2]
	v_add_u32_e32 v1, s0, v1
	v_add_co_u32_e32 v3, vcc, v10, v3
	v_addc_co_u32_e32 v4, vcc, v9, v4, vcc
	global_store_dwordx2 v[3:4], v[5:6], off
	ds_read_b64 v[3:4], v0 offset:1728
	v_lshlrev_b64 v[0:1], 3, v[1:2]
	v_add_co_u32_e32 v0, vcc, v10, v0
	v_addc_co_u32_e32 v1, vcc, v9, v1, vcc
	s_waitcnt lgkmcnt(0)
	global_store_dwordx2 v[0:1], v[3:4], off
	s_endpgm
	.section	.rodata,"a",@progbits
	.p2align	6, 0x0
	.amdhsa_kernel fft_rtc_fwd_len243_factors_3_3_3_3_3_wgs_216_tpt_27_sp_op_CI_CI_sbrc_xy_z_aligned
		.amdhsa_group_segment_fixed_size 0
		.amdhsa_private_segment_fixed_size 0
		.amdhsa_kernarg_size 104
		.amdhsa_user_sgpr_count 6
		.amdhsa_user_sgpr_private_segment_buffer 1
		.amdhsa_user_sgpr_dispatch_ptr 0
		.amdhsa_user_sgpr_queue_ptr 0
		.amdhsa_user_sgpr_kernarg_segment_ptr 1
		.amdhsa_user_sgpr_dispatch_id 0
		.amdhsa_user_sgpr_flat_scratch_init 0
		.amdhsa_user_sgpr_private_segment_size 0
		.amdhsa_uses_dynamic_stack 0
		.amdhsa_system_sgpr_private_segment_wavefront_offset 0
		.amdhsa_system_sgpr_workgroup_id_x 1
		.amdhsa_system_sgpr_workgroup_id_y 0
		.amdhsa_system_sgpr_workgroup_id_z 0
		.amdhsa_system_sgpr_workgroup_info 0
		.amdhsa_system_vgpr_workitem_id 0
		.amdhsa_next_free_vgpr 40
		.amdhsa_next_free_sgpr 32
		.amdhsa_reserve_vcc 1
		.amdhsa_reserve_flat_scratch 0
		.amdhsa_float_round_mode_32 0
		.amdhsa_float_round_mode_16_64 0
		.amdhsa_float_denorm_mode_32 3
		.amdhsa_float_denorm_mode_16_64 3
		.amdhsa_dx10_clamp 1
		.amdhsa_ieee_mode 1
		.amdhsa_fp16_overflow 0
		.amdhsa_exception_fp_ieee_invalid_op 0
		.amdhsa_exception_fp_denorm_src 0
		.amdhsa_exception_fp_ieee_div_zero 0
		.amdhsa_exception_fp_ieee_overflow 0
		.amdhsa_exception_fp_ieee_underflow 0
		.amdhsa_exception_fp_ieee_inexact 0
		.amdhsa_exception_int_div_zero 0
	.end_amdhsa_kernel
	.text
.Lfunc_end0:
	.size	fft_rtc_fwd_len243_factors_3_3_3_3_3_wgs_216_tpt_27_sp_op_CI_CI_sbrc_xy_z_aligned, .Lfunc_end0-fft_rtc_fwd_len243_factors_3_3_3_3_3_wgs_216_tpt_27_sp_op_CI_CI_sbrc_xy_z_aligned
                                        ; -- End function
	.section	.AMDGPU.csdata,"",@progbits
; Kernel info:
; codeLenInByte = 4964
; NumSgprs: 36
; NumVgprs: 40
; ScratchSize: 0
; MemoryBound: 0
; FloatMode: 240
; IeeeMode: 1
; LDSByteSize: 0 bytes/workgroup (compile time only)
; SGPRBlocks: 4
; VGPRBlocks: 9
; NumSGPRsForWavesPerEU: 36
; NumVGPRsForWavesPerEU: 40
; Occupancy: 6
; WaveLimiterHint : 1
; COMPUTE_PGM_RSRC2:SCRATCH_EN: 0
; COMPUTE_PGM_RSRC2:USER_SGPR: 6
; COMPUTE_PGM_RSRC2:TRAP_HANDLER: 0
; COMPUTE_PGM_RSRC2:TGID_X_EN: 1
; COMPUTE_PGM_RSRC2:TGID_Y_EN: 0
; COMPUTE_PGM_RSRC2:TGID_Z_EN: 0
; COMPUTE_PGM_RSRC2:TIDIG_COMP_CNT: 0
	.type	__hip_cuid_c833a9c6ea8aae8,@object ; @__hip_cuid_c833a9c6ea8aae8
	.section	.bss,"aw",@nobits
	.globl	__hip_cuid_c833a9c6ea8aae8
__hip_cuid_c833a9c6ea8aae8:
	.byte	0                               ; 0x0
	.size	__hip_cuid_c833a9c6ea8aae8, 1

	.ident	"AMD clang version 19.0.0git (https://github.com/RadeonOpenCompute/llvm-project roc-6.4.0 25133 c7fe45cf4b819c5991fe208aaa96edf142730f1d)"
	.section	".note.GNU-stack","",@progbits
	.addrsig
	.addrsig_sym __hip_cuid_c833a9c6ea8aae8
	.amdgpu_metadata
---
amdhsa.kernels:
  - .args:
      - .actual_access:  read_only
        .address_space:  global
        .offset:         0
        .size:           8
        .value_kind:     global_buffer
      - .offset:         8
        .size:           8
        .value_kind:     by_value
      - .actual_access:  read_only
        .address_space:  global
        .offset:         16
        .size:           8
        .value_kind:     global_buffer
      - .actual_access:  read_only
        .address_space:  global
        .offset:         24
        .size:           8
        .value_kind:     global_buffer
      - .actual_access:  read_only
        .address_space:  global
        .offset:         32
        .size:           8
        .value_kind:     global_buffer
      - .offset:         40
        .size:           8
        .value_kind:     by_value
      - .actual_access:  read_only
        .address_space:  global
        .offset:         48
        .size:           8
        .value_kind:     global_buffer
      - .actual_access:  read_only
        .address_space:  global
        .offset:         56
        .size:           8
        .value_kind:     global_buffer
      - .offset:         64
        .size:           4
        .value_kind:     by_value
      - .actual_access:  read_only
        .address_space:  global
        .offset:         72
        .size:           8
        .value_kind:     global_buffer
      - .actual_access:  read_only
        .address_space:  global
        .offset:         80
        .size:           8
        .value_kind:     global_buffer
      - .actual_access:  read_only
        .address_space:  global
        .offset:         88
        .size:           8
        .value_kind:     global_buffer
      - .actual_access:  write_only
        .address_space:  global
        .offset:         96
        .size:           8
        .value_kind:     global_buffer
    .group_segment_fixed_size: 0
    .kernarg_segment_align: 8
    .kernarg_segment_size: 104
    .language:       OpenCL C
    .language_version:
      - 2
      - 0
    .max_flat_workgroup_size: 216
    .name:           fft_rtc_fwd_len243_factors_3_3_3_3_3_wgs_216_tpt_27_sp_op_CI_CI_sbrc_xy_z_aligned
    .private_segment_fixed_size: 0
    .sgpr_count:     36
    .sgpr_spill_count: 0
    .symbol:         fft_rtc_fwd_len243_factors_3_3_3_3_3_wgs_216_tpt_27_sp_op_CI_CI_sbrc_xy_z_aligned.kd
    .uniform_work_group_size: 1
    .uses_dynamic_stack: false
    .vgpr_count:     40
    .vgpr_spill_count: 0
    .wavefront_size: 64
amdhsa.target:   amdgcn-amd-amdhsa--gfx906
amdhsa.version:
  - 1
  - 2
...

	.end_amdgpu_metadata
